;; amdgpu-corpus repo=ROCm/rocFFT kind=compiled arch=gfx1030 opt=O3
	.text
	.amdgcn_target "amdgcn-amd-amdhsa--gfx1030"
	.amdhsa_code_object_version 6
	.protected	fft_rtc_fwd_len1056_factors_2_2_2_2_11_6_wgs_176_tpt_176_halfLds_dp_ip_CI_sbrr_dirReg ; -- Begin function fft_rtc_fwd_len1056_factors_2_2_2_2_11_6_wgs_176_tpt_176_halfLds_dp_ip_CI_sbrr_dirReg
	.globl	fft_rtc_fwd_len1056_factors_2_2_2_2_11_6_wgs_176_tpt_176_halfLds_dp_ip_CI_sbrr_dirReg
	.p2align	8
	.type	fft_rtc_fwd_len1056_factors_2_2_2_2_11_6_wgs_176_tpt_176_halfLds_dp_ip_CI_sbrr_dirReg,@function
fft_rtc_fwd_len1056_factors_2_2_2_2_11_6_wgs_176_tpt_176_halfLds_dp_ip_CI_sbrr_dirReg: ; @fft_rtc_fwd_len1056_factors_2_2_2_2_11_6_wgs_176_tpt_176_halfLds_dp_ip_CI_sbrr_dirReg
; %bb.0:
	s_clause 0x2
	s_load_dwordx2 s[14:15], s[4:5], 0x18
	s_load_dwordx4 s[8:11], s[4:5], 0x0
	s_load_dwordx2 s[2:3], s[4:5], 0x50
	v_mul_u32_u24_e32 v1, 0x175, v0
	v_mov_b32_e32 v3, 0
	v_add_nc_u32_sdwa v5, s6, v1 dst_sel:DWORD dst_unused:UNUSED_PAD src0_sel:DWORD src1_sel:WORD_1
	v_mov_b32_e32 v1, 0
	v_mov_b32_e32 v6, v3
	v_mov_b32_e32 v2, 0
	s_waitcnt lgkmcnt(0)
	s_load_dwordx2 s[12:13], s[14:15], 0x0
	v_cmp_lt_u64_e64 s0, s[10:11], 2
	s_and_b32 vcc_lo, exec_lo, s0
	s_cbranch_vccnz .LBB0_8
; %bb.1:
	s_load_dwordx2 s[0:1], s[4:5], 0x10
	v_mov_b32_e32 v1, 0
	s_add_u32 s6, s14, 8
	v_mov_b32_e32 v2, 0
	s_addc_u32 s7, s15, 0
	s_mov_b64 s[18:19], 1
	s_waitcnt lgkmcnt(0)
	s_add_u32 s16, s0, 8
	s_addc_u32 s17, s1, 0
.LBB0_2:                                ; =>This Inner Loop Header: Depth=1
	s_load_dwordx2 s[20:21], s[16:17], 0x0
                                        ; implicit-def: $vgpr7_vgpr8
	s_mov_b32 s0, exec_lo
	s_waitcnt lgkmcnt(0)
	v_or_b32_e32 v4, s21, v6
	v_cmpx_ne_u64_e32 0, v[3:4]
	s_xor_b32 s1, exec_lo, s0
	s_cbranch_execz .LBB0_4
; %bb.3:                                ;   in Loop: Header=BB0_2 Depth=1
	v_cvt_f32_u32_e32 v4, s20
	v_cvt_f32_u32_e32 v7, s21
	s_sub_u32 s0, 0, s20
	s_subb_u32 s22, 0, s21
	v_fmac_f32_e32 v4, 0x4f800000, v7
	v_rcp_f32_e32 v4, v4
	v_mul_f32_e32 v4, 0x5f7ffffc, v4
	v_mul_f32_e32 v7, 0x2f800000, v4
	v_trunc_f32_e32 v7, v7
	v_fmac_f32_e32 v4, 0xcf800000, v7
	v_cvt_u32_f32_e32 v7, v7
	v_cvt_u32_f32_e32 v4, v4
	v_mul_lo_u32 v8, s0, v7
	v_mul_hi_u32 v9, s0, v4
	v_mul_lo_u32 v10, s22, v4
	v_add_nc_u32_e32 v8, v9, v8
	v_mul_lo_u32 v9, s0, v4
	v_add_nc_u32_e32 v8, v8, v10
	v_mul_hi_u32 v10, v4, v9
	v_mul_lo_u32 v11, v4, v8
	v_mul_hi_u32 v12, v4, v8
	v_mul_hi_u32 v13, v7, v9
	v_mul_lo_u32 v9, v7, v9
	v_mul_hi_u32 v14, v7, v8
	v_mul_lo_u32 v8, v7, v8
	v_add_co_u32 v10, vcc_lo, v10, v11
	v_add_co_ci_u32_e32 v11, vcc_lo, 0, v12, vcc_lo
	v_add_co_u32 v9, vcc_lo, v10, v9
	v_add_co_ci_u32_e32 v9, vcc_lo, v11, v13, vcc_lo
	v_add_co_ci_u32_e32 v10, vcc_lo, 0, v14, vcc_lo
	v_add_co_u32 v8, vcc_lo, v9, v8
	v_add_co_ci_u32_e32 v9, vcc_lo, 0, v10, vcc_lo
	v_add_co_u32 v4, vcc_lo, v4, v8
	v_add_co_ci_u32_e32 v7, vcc_lo, v7, v9, vcc_lo
	v_mul_hi_u32 v8, s0, v4
	v_mul_lo_u32 v10, s22, v4
	v_mul_lo_u32 v9, s0, v7
	v_add_nc_u32_e32 v8, v8, v9
	v_mul_lo_u32 v9, s0, v4
	v_add_nc_u32_e32 v8, v8, v10
	v_mul_hi_u32 v10, v4, v9
	v_mul_lo_u32 v11, v4, v8
	v_mul_hi_u32 v12, v4, v8
	v_mul_hi_u32 v13, v7, v9
	v_mul_lo_u32 v9, v7, v9
	v_mul_hi_u32 v14, v7, v8
	v_mul_lo_u32 v8, v7, v8
	v_add_co_u32 v10, vcc_lo, v10, v11
	v_add_co_ci_u32_e32 v11, vcc_lo, 0, v12, vcc_lo
	v_add_co_u32 v9, vcc_lo, v10, v9
	v_add_co_ci_u32_e32 v9, vcc_lo, v11, v13, vcc_lo
	v_add_co_ci_u32_e32 v10, vcc_lo, 0, v14, vcc_lo
	v_add_co_u32 v8, vcc_lo, v9, v8
	v_add_co_ci_u32_e32 v9, vcc_lo, 0, v10, vcc_lo
	v_add_co_u32 v4, vcc_lo, v4, v8
	v_add_co_ci_u32_e32 v11, vcc_lo, v7, v9, vcc_lo
	v_mul_hi_u32 v13, v5, v4
	v_mad_u64_u32 v[9:10], null, v6, v4, 0
	v_mad_u64_u32 v[7:8], null, v5, v11, 0
	;; [unrolled: 1-line block ×3, first 2 shown]
	v_add_co_u32 v4, vcc_lo, v13, v7
	v_add_co_ci_u32_e32 v7, vcc_lo, 0, v8, vcc_lo
	v_add_co_u32 v4, vcc_lo, v4, v9
	v_add_co_ci_u32_e32 v4, vcc_lo, v7, v10, vcc_lo
	v_add_co_ci_u32_e32 v7, vcc_lo, 0, v12, vcc_lo
	v_add_co_u32 v4, vcc_lo, v4, v11
	v_add_co_ci_u32_e32 v9, vcc_lo, 0, v7, vcc_lo
	v_mul_lo_u32 v10, s21, v4
	v_mad_u64_u32 v[7:8], null, s20, v4, 0
	v_mul_lo_u32 v11, s20, v9
	v_sub_co_u32 v7, vcc_lo, v5, v7
	v_add3_u32 v8, v8, v11, v10
	v_sub_nc_u32_e32 v10, v6, v8
	v_subrev_co_ci_u32_e64 v10, s0, s21, v10, vcc_lo
	v_add_co_u32 v11, s0, v4, 2
	v_add_co_ci_u32_e64 v12, s0, 0, v9, s0
	v_sub_co_u32 v13, s0, v7, s20
	v_sub_co_ci_u32_e32 v8, vcc_lo, v6, v8, vcc_lo
	v_subrev_co_ci_u32_e64 v10, s0, 0, v10, s0
	v_cmp_le_u32_e32 vcc_lo, s20, v13
	v_cmp_eq_u32_e64 s0, s21, v8
	v_cndmask_b32_e64 v13, 0, -1, vcc_lo
	v_cmp_le_u32_e32 vcc_lo, s21, v10
	v_cndmask_b32_e64 v14, 0, -1, vcc_lo
	v_cmp_le_u32_e32 vcc_lo, s20, v7
	;; [unrolled: 2-line block ×3, first 2 shown]
	v_cndmask_b32_e64 v15, 0, -1, vcc_lo
	v_cmp_eq_u32_e32 vcc_lo, s21, v10
	v_cndmask_b32_e64 v7, v15, v7, s0
	v_cndmask_b32_e32 v10, v14, v13, vcc_lo
	v_add_co_u32 v13, vcc_lo, v4, 1
	v_add_co_ci_u32_e32 v14, vcc_lo, 0, v9, vcc_lo
	v_cmp_ne_u32_e32 vcc_lo, 0, v10
	v_cndmask_b32_e32 v8, v14, v12, vcc_lo
	v_cndmask_b32_e32 v10, v13, v11, vcc_lo
	v_cmp_ne_u32_e32 vcc_lo, 0, v7
	v_cndmask_b32_e32 v8, v9, v8, vcc_lo
	v_cndmask_b32_e32 v7, v4, v10, vcc_lo
.LBB0_4:                                ;   in Loop: Header=BB0_2 Depth=1
	s_andn2_saveexec_b32 s0, s1
	s_cbranch_execz .LBB0_6
; %bb.5:                                ;   in Loop: Header=BB0_2 Depth=1
	v_cvt_f32_u32_e32 v4, s20
	s_sub_i32 s1, 0, s20
	v_rcp_iflag_f32_e32 v4, v4
	v_mul_f32_e32 v4, 0x4f7ffffe, v4
	v_cvt_u32_f32_e32 v4, v4
	v_mul_lo_u32 v7, s1, v4
	v_mul_hi_u32 v7, v4, v7
	v_add_nc_u32_e32 v4, v4, v7
	v_mul_hi_u32 v4, v5, v4
	v_mul_lo_u32 v7, v4, s20
	v_add_nc_u32_e32 v8, 1, v4
	v_sub_nc_u32_e32 v7, v5, v7
	v_subrev_nc_u32_e32 v9, s20, v7
	v_cmp_le_u32_e32 vcc_lo, s20, v7
	v_cndmask_b32_e32 v7, v7, v9, vcc_lo
	v_cndmask_b32_e32 v4, v4, v8, vcc_lo
	v_cmp_le_u32_e32 vcc_lo, s20, v7
	v_add_nc_u32_e32 v8, 1, v4
	v_cndmask_b32_e32 v7, v4, v8, vcc_lo
	v_mov_b32_e32 v8, v3
.LBB0_6:                                ;   in Loop: Header=BB0_2 Depth=1
	s_or_b32 exec_lo, exec_lo, s0
	s_load_dwordx2 s[0:1], s[6:7], 0x0
	v_mul_lo_u32 v4, v8, s20
	v_mul_lo_u32 v11, v7, s21
	v_mad_u64_u32 v[9:10], null, v7, s20, 0
	s_add_u32 s18, s18, 1
	s_addc_u32 s19, s19, 0
	s_add_u32 s6, s6, 8
	s_addc_u32 s7, s7, 0
	;; [unrolled: 2-line block ×3, first 2 shown]
	v_add3_u32 v4, v10, v11, v4
	v_sub_co_u32 v5, vcc_lo, v5, v9
	v_sub_co_ci_u32_e32 v4, vcc_lo, v6, v4, vcc_lo
	s_waitcnt lgkmcnt(0)
	v_mul_lo_u32 v6, s1, v5
	v_mul_lo_u32 v4, s0, v4
	v_mad_u64_u32 v[1:2], null, s0, v5, v[1:2]
	v_cmp_ge_u64_e64 s0, s[18:19], s[10:11]
	s_and_b32 vcc_lo, exec_lo, s0
	v_add3_u32 v2, v6, v2, v4
	s_cbranch_vccnz .LBB0_9
; %bb.7:                                ;   in Loop: Header=BB0_2 Depth=1
	v_mov_b32_e32 v5, v7
	v_mov_b32_e32 v6, v8
	s_branch .LBB0_2
.LBB0_8:
	v_mov_b32_e32 v8, v6
	v_mov_b32_e32 v7, v5
.LBB0_9:
	s_lshl_b64 s[0:1], s[10:11], 3
	v_mul_hi_u32 v3, 0x1745d18, v0
	s_add_u32 s0, s14, s0
	s_addc_u32 s1, s15, s1
	s_load_dwordx2 s[0:1], s[0:1], 0x0
	s_load_dwordx2 s[4:5], s[4:5], 0x20
	v_mul_u32_u24_e32 v3, 0xb0, v3
	v_sub_nc_u32_e32 v57, v0, v3
	v_add_nc_u32_e32 v24, 0xb0, v57
	v_add_nc_u32_e32 v25, 0x160, v57
	s_waitcnt lgkmcnt(0)
	v_mul_lo_u32 v4, s0, v8
	v_mul_lo_u32 v5, s1, v7
	v_mad_u64_u32 v[1:2], null, s0, v7, v[1:2]
	v_cmp_gt_u64_e32 vcc_lo, s[4:5], v[7:8]
	v_cmp_le_u64_e64 s0, s[4:5], v[7:8]
                                        ; implicit-def: $sgpr4
	v_add3_u32 v2, v5, v2, v4
	s_and_saveexec_b32 s1, s0
	s_xor_b32 s0, exec_lo, s1
; %bb.10:
	v_add_nc_u32_e32 v24, 0xb0, v57
	v_add_nc_u32_e32 v25, 0x160, v57
	s_mov_b32 s4, 0
; %bb.11:
	s_or_saveexec_b32 s1, s0
	v_lshlrev_b64 v[40:41], 4, v[1:2]
	v_mov_b32_e32 v56, s4
                                        ; implicit-def: $vgpr14_vgpr15
                                        ; implicit-def: $vgpr2_vgpr3
                                        ; implicit-def: $vgpr18_vgpr19
                                        ; implicit-def: $vgpr6_vgpr7
                                        ; implicit-def: $vgpr22_vgpr23
                                        ; implicit-def: $vgpr10_vgpr11
	s_xor_b32 exec_lo, exec_lo, s1
	s_cbranch_execz .LBB0_13
; %bb.12:
	v_add_nc_u32_e32 v9, 0x210, v57
	v_mad_u64_u32 v[0:1], null, s12, v57, 0
	v_mad_u64_u32 v[4:5], null, s12, v24, 0
	;; [unrolled: 1-line block ×3, first 2 shown]
	v_add_nc_u32_e32 v11, 0x2c0, v57
	v_add_nc_u32_e32 v14, 0x370, v57
	v_add_co_u32 v16, s0, s2, v40
	v_add_co_ci_u32_e64 v17, s0, s3, v41, s0
	v_mad_u64_u32 v[6:7], null, s13, v57, v[1:2]
	v_mov_b32_e32 v1, v3
	v_mad_u64_u32 v[7:8], null, s12, v11, 0
	v_mov_b32_e32 v3, v5
	v_mov_b32_e32 v56, v57
	v_mad_u64_u32 v[9:10], null, s13, v9, v[1:2]
	v_mov_b32_e32 v1, v6
	v_mad_u64_u32 v[5:6], null, s13, v24, v[3:4]
	v_mov_b32_e32 v6, v8
	v_lshlrev_b64 v[0:1], 4, v[0:1]
	v_mov_b32_e32 v3, v9
	v_mad_u64_u32 v[9:10], null, s12, v25, 0
	v_mad_u64_u32 v[11:12], null, s13, v11, v[6:7]
	;; [unrolled: 1-line block ×3, first 2 shown]
	v_lshlrev_b64 v[2:3], 4, v[2:3]
	v_add_co_u32 v0, s0, v16, v0
	v_mov_b32_e32 v6, v10
	v_mov_b32_e32 v8, v11
	v_lshlrev_b64 v[4:5], 4, v[4:5]
	v_add_co_ci_u32_e64 v1, s0, v17, v1, s0
	v_mad_u64_u32 v[10:11], null, s13, v25, v[6:7]
	v_mov_b32_e32 v6, v13
	v_add_co_u32 v2, s0, v16, v2
	v_add_co_ci_u32_e64 v3, s0, v17, v3, s0
	v_mad_u64_u32 v[13:14], null, s13, v14, v[6:7]
	v_lshlrev_b64 v[6:7], 4, v[7:8]
	v_add_co_u32 v4, s0, v16, v4
	v_add_co_ci_u32_e64 v5, s0, v17, v5, s0
	v_lshlrev_b64 v[8:9], 4, v[9:10]
	v_add_co_u32 v14, s0, v16, v6
	v_add_co_ci_u32_e64 v15, s0, v17, v7, s0
	;; [unrolled: 3-line block ×3, first 2 shown]
	v_add_co_u32 v26, s0, v16, v6
	v_add_co_ci_u32_e64 v27, s0, v17, v7, s0
	s_clause 0x5
	global_load_dwordx4 v[8:11], v[0:1], off
	global_load_dwordx4 v[20:23], v[2:3], off
	;; [unrolled: 1-line block ×6, first 2 shown]
.LBB0_13:
	s_or_b32 exec_lo, exec_lo, s1
	s_waitcnt vmcnt(4)
	v_add_f64 v[20:21], v[8:9], -v[20:21]
	s_waitcnt vmcnt(0)
	v_add_f64 v[28:29], v[0:1], -v[12:13]
	v_add_f64 v[12:13], v[10:11], -v[22:23]
	;; [unrolled: 1-line block ×5, first 2 shown]
	v_lshl_add_u32 v47, v57, 4, 0
	v_lshlrev_b32_e32 v44, 3, v57
	v_and_b32_e32 v38, 1, v57
	v_lshl_add_u32 v60, v25, 4, 0
	v_lshlrev_b32_e32 v63, 3, v25
	v_lshl_add_u32 v59, v24, 4, 0
	v_sub_nc_u32_e32 v42, v47, v44
	v_lshlrev_b32_e32 v62, 3, v24
	v_lshlrev_b32_e32 v46, 1, v57
	v_sub_nc_u32_e32 v43, v60, v63
	v_lshlrev_b32_e32 v48, 1, v24
	v_add_nc_u32_e32 v45, 0x1000, v42
	v_sub_nc_u32_e32 v39, v59, v62
	v_lshlrev_b32_e32 v49, 1, v25
	v_and_b32_e32 v50, 7, v57
	v_and_or_b32 v24, 0x3fc, v48, v38
	v_fma_f64 v[18:19], v[8:9], 2.0, -v[20:21]
	v_fma_f64 v[26:27], v[0:1], 2.0, -v[28:29]
	;; [unrolled: 1-line block ×6, first 2 shown]
	v_lshlrev_b32_e32 v4, 4, v38
	v_and_or_b32 v25, 0x7fc, v49, v38
	v_lshl_add_u32 v24, v24, 3, 0
	v_cmp_gt_u32_e64 s0, 0x60, v57
                                        ; implicit-def: $vgpr52_vgpr53
	ds_write_b128 v47, v[18:21]
	ds_write_b128 v59, v[14:17]
	;; [unrolled: 1-line block ×3, first 2 shown]
	s_waitcnt lgkmcnt(0)
	s_barrier
	buffer_gl0_inv
	ds_read_b64 v[14:15], v42
	ds_read2_b64 v[0:3], v45 offset0:16 offset1:192
	ds_read_b64 v[16:17], v43
	ds_read_b64 v[18:19], v39
	ds_read_b64 v[20:21], v42 offset:7040
	s_waitcnt lgkmcnt(0)
	s_barrier
	buffer_gl0_inv
	ds_write_b128 v47, v[10:13]
	ds_write_b128 v59, v[30:33]
	;; [unrolled: 1-line block ×3, first 2 shown]
	s_waitcnt lgkmcnt(0)
	s_barrier
	buffer_gl0_inv
	global_load_dwordx4 v[4:7], v4, s[8:9]
	ds_read2_b64 v[8:11], v45 offset0:16 offset1:192
	ds_read_b64 v[12:13], v43
	ds_read_b64 v[22:23], v42 offset:7040
	v_lshl_add_u32 v25, v25, 3, 0
	s_waitcnt vmcnt(0) lgkmcnt(2)
	v_mul_f64 v[26:27], v[8:9], v[6:7]
	v_mul_f64 v[32:33], v[0:1], v[6:7]
	;; [unrolled: 1-line block ×4, first 2 shown]
	s_waitcnt lgkmcnt(0)
	v_mul_f64 v[30:31], v[22:23], v[6:7]
	v_mul_f64 v[6:7], v[20:21], v[6:7]
	v_fma_f64 v[0:1], v[0:1], v[4:5], -v[26:27]
	v_fma_f64 v[8:9], v[8:9], v[4:5], v[32:33]
	v_fma_f64 v[2:3], v[2:3], v[4:5], -v[28:29]
	v_fma_f64 v[10:11], v[10:11], v[4:5], v[34:35]
	v_fma_f64 v[20:21], v[20:21], v[4:5], -v[30:31]
	ds_read_b64 v[26:27], v42
	v_fma_f64 v[4:5], v[22:23], v[4:5], v[6:7]
	ds_read_b64 v[6:7], v39
	v_and_or_b32 v22, 0x1fc, v46, v38
	v_and_b32_e32 v34, 3, v57
	s_waitcnt lgkmcnt(0)
	s_barrier
	buffer_gl0_inv
	v_lshl_add_u32 v29, v22, 3, 0
	v_lshlrev_b32_e32 v28, 4, v34
	v_add_f64 v[0:1], v[14:15], -v[0:1]
	v_add_f64 v[2:3], v[18:19], -v[2:3]
	;; [unrolled: 1-line block ×6, first 2 shown]
	v_fma_f64 v[14:15], v[14:15], 2.0, -v[0:1]
	v_fma_f64 v[18:19], v[18:19], 2.0, -v[2:3]
	;; [unrolled: 1-line block ×6, first 2 shown]
	ds_write2_b64 v29, v[14:15], v[0:1] offset1:2
	ds_write2_b64 v24, v[18:19], v[2:3] offset1:2
	;; [unrolled: 1-line block ×3, first 2 shown]
	s_waitcnt lgkmcnt(0)
	s_barrier
	buffer_gl0_inv
	ds_read_b64 v[14:15], v42
	ds_read2_b64 v[0:3], v45 offset0:16 offset1:192
	ds_read_b64 v[16:17], v43
	ds_read_b64 v[18:19], v39
	ds_read_b64 v[20:21], v42 offset:7040
	s_waitcnt lgkmcnt(0)
	s_barrier
	buffer_gl0_inv
	ds_write2_b64 v29, v[22:23], v[8:9] offset1:2
	ds_write2_b64 v24, v[6:7], v[10:11] offset1:2
	;; [unrolled: 1-line block ×3, first 2 shown]
	s_waitcnt lgkmcnt(0)
	s_barrier
	buffer_gl0_inv
	global_load_dwordx4 v[4:7], v28, s[8:9] offset:32
	ds_read2_b64 v[8:11], v45 offset0:16 offset1:192
	ds_read_b64 v[12:13], v43
	ds_read_b64 v[22:23], v42 offset:7040
	s_waitcnt vmcnt(0) lgkmcnt(2)
	v_mul_f64 v[24:25], v[8:9], v[6:7]
	v_mul_f64 v[30:31], v[0:1], v[6:7]
	;; [unrolled: 1-line block ×4, first 2 shown]
	s_waitcnt lgkmcnt(0)
	v_mul_f64 v[28:29], v[22:23], v[6:7]
	v_mul_f64 v[6:7], v[20:21], v[6:7]
	v_fma_f64 v[0:1], v[0:1], v[4:5], -v[24:25]
	v_fma_f64 v[8:9], v[8:9], v[4:5], v[30:31]
	v_fma_f64 v[2:3], v[2:3], v[4:5], -v[26:27]
	v_fma_f64 v[10:11], v[10:11], v[4:5], v[32:33]
	v_fma_f64 v[20:21], v[20:21], v[4:5], -v[28:29]
	ds_read_b64 v[24:25], v42
	v_fma_f64 v[4:5], v[22:23], v[4:5], v[6:7]
	ds_read_b64 v[6:7], v39
	v_and_or_b32 v22, 0x1f8, v46, v34
	v_and_or_b32 v26, 0x3f8, v48, v34
	;; [unrolled: 1-line block ×3, first 2 shown]
	v_lshlrev_b32_e32 v28, 4, v50
	s_waitcnt lgkmcnt(0)
	v_lshl_add_u32 v29, v22, 3, 0
	s_barrier
	buffer_gl0_inv
	v_add_f64 v[0:1], v[14:15], -v[0:1]
	v_add_f64 v[2:3], v[18:19], -v[2:3]
	v_add_f64 v[8:9], v[24:25], -v[8:9]
	v_add_f64 v[20:21], v[16:17], -v[20:21]
	v_add_f64 v[10:11], v[6:7], -v[10:11]
	v_add_f64 v[4:5], v[12:13], -v[4:5]
	v_fma_f64 v[14:15], v[14:15], 2.0, -v[0:1]
	v_fma_f64 v[18:19], v[18:19], 2.0, -v[2:3]
	;; [unrolled: 1-line block ×6, first 2 shown]
	v_lshl_add_u32 v24, v26, 3, 0
	v_lshl_add_u32 v25, v27, 3, 0
	ds_write2_b64 v29, v[14:15], v[0:1] offset1:4
	ds_write2_b64 v24, v[18:19], v[2:3] offset1:4
	;; [unrolled: 1-line block ×3, first 2 shown]
	s_waitcnt lgkmcnt(0)
	s_barrier
	buffer_gl0_inv
	ds_read_b64 v[16:17], v42
	ds_read2_b64 v[0:3], v45 offset0:16 offset1:192
	ds_read_b64 v[18:19], v43
	ds_read_b64 v[20:21], v39
	ds_read_b64 v[32:33], v42 offset:7040
	s_waitcnt lgkmcnt(0)
	s_barrier
	buffer_gl0_inv
	ds_write2_b64 v29, v[22:23], v[8:9] offset1:4
	ds_write2_b64 v24, v[6:7], v[10:11] offset1:4
	;; [unrolled: 1-line block ×3, first 2 shown]
	s_waitcnt lgkmcnt(0)
	s_barrier
	buffer_gl0_inv
	global_load_dwordx4 v[24:27], v28, s[8:9] offset:96
	ds_read2_b64 v[28:31], v45 offset0:16 offset1:192
	ds_read_b64 v[36:37], v43
	ds_read_b64 v[34:35], v42 offset:7040
	ds_read_b64 v[38:39], v39
	ds_read_b64 v[42:43], v42
	s_waitcnt vmcnt(0) lgkmcnt(0)
	s_barrier
	buffer_gl0_inv
                                        ; implicit-def: $vgpr22_vgpr23
	v_mul_f64 v[4:5], v[28:29], v[26:27]
	v_mul_f64 v[6:7], v[30:31], v[26:27]
	;; [unrolled: 1-line block ×3, first 2 shown]
	v_fma_f64 v[4:5], v[0:1], v[24:25], -v[4:5]
	v_fma_f64 v[10:11], v[2:3], v[24:25], -v[6:7]
	v_fma_f64 v[8:9], v[32:33], v[24:25], -v[8:9]
	v_add_f64 v[6:7], v[16:17], -v[4:5]
	v_add_f64 v[14:15], v[20:21], -v[10:11]
	v_add_f64 v[10:11], v[18:19], -v[8:9]
	v_fma_f64 v[4:5], v[16:17], 2.0, -v[6:7]
	v_fma_f64 v[12:13], v[20:21], 2.0, -v[14:15]
	;; [unrolled: 1-line block ×3, first 2 shown]
	v_and_or_b32 v16, 0x1f0, v46, v50
	v_and_or_b32 v17, 0x3f0, v48, v50
	;; [unrolled: 1-line block ×3, first 2 shown]
	v_sub_nc_u32_e32 v19, 0, v44
	v_lshl_add_u32 v44, v16, 3, 0
	v_lshl_add_u32 v45, v17, 3, 0
	;; [unrolled: 1-line block ×3, first 2 shown]
	v_add_nc_u32_e32 v58, v47, v19
	ds_write2_b64 v44, v[4:5], v[6:7] offset1:8
	ds_write2_b64 v45, v[12:13], v[14:15] offset1:8
	;; [unrolled: 1-line block ×3, first 2 shown]
	s_waitcnt lgkmcnt(0)
	s_barrier
	buffer_gl0_inv
                                        ; implicit-def: $vgpr18_vgpr19
	s_and_saveexec_b32 s1, s0
	s_cbranch_execz .LBB0_15
; %bb.14:
	v_add_nc_u32_e32 v8, 0x400, v58
	v_add_nc_u32_e32 v9, 0x800, v58
	;; [unrolled: 1-line block ×4, first 2 shown]
	ds_read2_b64 v[4:7], v58 offset1:96
	ds_read2_b64 v[12:15], v8 offset0:64 offset1:160
	ds_read2_b64 v[8:11], v9 offset0:128 offset1:224
	;; [unrolled: 1-line block ×3, first 2 shown]
	ds_read2_b64 v[16:19], v17 offset1:96
	ds_read_b64 v[52:53], v58 offset:7680
.LBB0_15:
	s_or_b32 exec_lo, exec_lo, s1
	v_mul_f64 v[0:1], v[0:1], v[26:27]
	v_mul_f64 v[2:3], v[2:3], v[26:27]
	;; [unrolled: 1-line block ×3, first 2 shown]
	s_waitcnt lgkmcnt(0)
	s_barrier
	buffer_gl0_inv
                                        ; implicit-def: $vgpr54_vgpr55
	v_fma_f64 v[0:1], v[28:29], v[24:25], v[0:1]
	v_fma_f64 v[28:29], v[30:31], v[24:25], v[2:3]
	;; [unrolled: 1-line block ×3, first 2 shown]
	v_add_f64 v[2:3], v[42:43], -v[0:1]
	v_add_f64 v[34:35], v[38:39], -v[28:29]
	;; [unrolled: 1-line block ×3, first 2 shown]
	v_fma_f64 v[0:1], v[42:43], 2.0, -v[2:3]
	v_fma_f64 v[32:33], v[38:39], 2.0, -v[34:35]
	;; [unrolled: 1-line block ×3, first 2 shown]
                                        ; implicit-def: $vgpr38_vgpr39
	ds_write2_b64 v44, v[0:1], v[2:3] offset1:8
	ds_write2_b64 v45, v[32:33], v[34:35] offset1:8
	;; [unrolled: 1-line block ×3, first 2 shown]
	s_waitcnt lgkmcnt(0)
	s_barrier
	buffer_gl0_inv
	s_and_saveexec_b32 s1, s0
	s_cbranch_execz .LBB0_17
; %bb.16:
	v_add_nc_u32_e32 v24, 0x400, v58
	v_lshl_add_u32 v25, v57, 3, 0
	v_add_nc_u32_e32 v28, 0xc00, v58
	v_add_nc_u32_e32 v36, 0x100, v58
	ds_read2_b64 v[0:3], v58 offset1:96
	ds_read2_b64 v[32:35], v24 offset0:64 offset1:160
	ds_read2st64_b64 v[24:27], v25 offset0:6 offset1:12
	ds_read2_b64 v[28:31], v28 offset0:96 offset1:192
	ds_read2st64_b64 v[36:39], v36 offset0:10 offset1:13
	ds_read_b64 v[54:55], v58 offset:7680
.LBB0_17:
	s_or_b32 exec_lo, exec_lo, s1
	v_and_b32_e32 v61, 15, v57
	v_mul_u32_u24_e32 v42, 10, v61
	v_lshlrev_b32_e32 v46, 4, v42
	s_clause 0x9
	global_load_dwordx4 v[42:45], v46, s[8:9] offset:240
	global_load_dwordx4 v[64:67], v46, s[8:9] offset:256
	;; [unrolled: 1-line block ×10, first 2 shown]
	s_waitcnt vmcnt(0) lgkmcnt(0)
	s_barrier
	buffer_gl0_inv
	v_mul_f64 v[46:47], v[32:33], v[44:45]
	v_mul_f64 v[44:45], v[12:13], v[44:45]
	;; [unrolled: 1-line block ×20, first 2 shown]
	v_fma_f64 v[50:51], v[12:13], v[42:43], -v[46:47]
	v_fma_f64 v[48:49], v[32:33], v[42:43], v[44:45]
	v_fma_f64 v[46:47], v[14:15], v[64:65], -v[100:101]
	v_fma_f64 v[44:45], v[34:35], v[64:65], v[66:67]
	;; [unrolled: 2-line block ×4, first 2 shown]
	v_fma_f64 v[14:15], v[30:31], v[76:77], v[106:107]
	v_fma_f64 v[20:21], v[20:21], v[76:77], -v[78:79]
	v_fma_f64 v[22:23], v[22:23], v[80:81], -v[108:109]
	v_fma_f64 v[12:13], v[36:37], v[80:81], v[82:83]
	v_fma_f64 v[10:11], v[26:27], v[84:85], v[110:111]
	v_fma_f64 v[26:27], v[16:17], v[84:85], -v[86:87]
	v_fma_f64 v[28:29], v[18:19], v[88:89], -v[112:113]
	v_fma_f64 v[8:9], v[38:39], v[88:89], v[90:91]
	v_fma_f64 v[30:31], v[6:7], v[92:93], -v[114:115]
	v_fma_f64 v[36:37], v[2:3], v[92:93], v[94:95]
	;; [unrolled: 2-line block ×3, first 2 shown]
	v_sub_nc_u32_e32 v3, 0, v62
	v_sub_nc_u32_e32 v2, 0, v63
	v_lshrrev_b32_e32 v62, 4, v57
	s_and_saveexec_b32 s1, s0
	s_cbranch_execz .LBB0_19
; %bb.18:
	v_add_f64 v[16:17], v[4:5], v[30:31]
	v_add_f64 v[18:19], v[36:37], -v[6:7]
	v_add_f64 v[52:53], v[32:33], -v[12:13]
	;; [unrolled: 1-line block ×4, first 2 shown]
	s_mov_b32 s18, 0xfd768dbf
	s_mov_b32 s24, 0xbb3a28a1
	;; [unrolled: 1-line block ×8, first 2 shown]
	v_add_f64 v[65:66], v[30:31], v[38:39]
	s_mov_b32 s21, 0xbfefac9e
	s_mov_b32 s27, 0x3fe14ced
	;; [unrolled: 1-line block ×3, first 2 shown]
	v_add_f64 v[67:68], v[48:49], -v[8:9]
	s_mov_b32 s28, s26
	s_mov_b32 s4, 0x9bcd5057
	;; [unrolled: 1-line block ×4, first 2 shown]
	v_add_f64 v[16:17], v[16:17], v[50:51]
	v_mul_f64 v[77:78], v[18:19], s[18:19]
	v_mul_f64 v[79:80], v[52:53], s[22:23]
	;; [unrolled: 1-line block ×5, first 2 shown]
	s_mov_b32 s23, 0xbfed1bb4
	v_mul_f64 v[87:88], v[18:19], s[20:21]
	v_mul_f64 v[89:90], v[18:19], s[28:29]
	;; [unrolled: 1-line block ×3, first 2 shown]
	s_mov_b32 s11, 0xbfe4f49e
	s_mov_b32 s31, 0x3fefac9e
	;; [unrolled: 1-line block ×11, first 2 shown]
	v_add_f64 v[69:70], v[50:51], v[28:29]
	v_add_f64 v[16:17], v[16:17], v[46:47]
	v_mul_f64 v[91:92], v[67:68], s[26:27]
	v_mul_f64 v[93:94], v[67:68], s[30:31]
	v_fma_f64 v[111:112], v[65:66], s[4:5], v[77:78]
	v_fma_f64 v[77:78], v[65:66], s[4:5], -v[77:78]
	v_fma_f64 v[113:114], v[65:66], s[10:11], v[83:84]
	v_fma_f64 v[83:84], v[65:66], s[10:11], -v[83:84]
	v_mul_f64 v[95:96], v[67:68], s[34:35]
	v_mul_f64 v[97:98], v[67:68], s[24:25]
	;; [unrolled: 1-line block ×3, first 2 shown]
	v_fma_f64 v[115:116], v[65:66], s[16:17], v[87:88]
	v_fma_f64 v[87:88], v[65:66], s[16:17], -v[87:88]
	v_fma_f64 v[117:118], v[65:66], s[14:15], v[89:90]
	v_fma_f64 v[89:90], v[65:66], s[14:15], -v[89:90]
	v_fma_f64 v[119:120], v[65:66], s[6:7], -v[18:19]
	v_fma_f64 v[18:19], v[65:66], s[6:7], v[18:19]
	v_add_f64 v[71:72], v[46:47], v[26:27]
	v_mul_f64 v[99:100], v[63:64], s[24:25]
	v_mul_f64 v[101:102], v[63:64], s[28:29]
	;; [unrolled: 1-line block ×4, first 2 shown]
	v_add_f64 v[73:74], v[42:43], v[22:23]
	v_add_f64 v[16:17], v[16:17], v[42:43]
	v_fma_f64 v[65:66], v[69:70], s[14:15], v[91:92]
	v_fma_f64 v[91:92], v[69:70], s[14:15], -v[91:92]
	v_fma_f64 v[121:122], v[69:70], s[16:17], v[93:94]
	v_fma_f64 v[93:94], v[69:70], s[16:17], -v[93:94]
	v_add_f64 v[77:78], v[4:5], v[77:78]
	v_add_f64 v[83:84], v[4:5], v[83:84]
	v_fma_f64 v[123:124], v[69:70], s[4:5], v[95:96]
	v_fma_f64 v[95:96], v[69:70], s[4:5], -v[95:96]
	v_fma_f64 v[125:126], v[69:70], s[10:11], v[97:98]
	v_fma_f64 v[97:98], v[69:70], s[10:11], -v[97:98]
	v_add_f64 v[111:112], v[4:5], v[111:112]
	v_fma_f64 v[129:130], v[69:70], s[6:7], v[67:68]
	v_fma_f64 v[67:68], v[69:70], s[6:7], -v[67:68]
	v_add_f64 v[69:70], v[4:5], v[113:114]
	v_add_f64 v[113:114], v[4:5], v[115:116]
	v_add_f64 v[87:88], v[4:5], v[87:88]
	v_add_f64 v[89:90], v[4:5], v[89:90]
	v_add_f64 v[115:116], v[4:5], v[119:120]
	v_add_f64 v[18:19], v[4:5], v[18:19]
	v_add_f64 v[4:5], v[4:5], v[117:118]
	v_mul_f64 v[105:106], v[52:53], s[18:19]
	v_add_f64 v[16:17], v[16:17], v[34:35]
	v_mul_f64 v[107:108], v[52:53], s[28:29]
	v_mul_f64 v[109:110], v[52:53], s[30:31]
	;; [unrolled: 1-line block ×3, first 2 shown]
	v_fma_f64 v[127:128], v[71:72], s[10:11], v[99:100]
	v_fma_f64 v[99:100], v[71:72], s[10:11], -v[99:100]
	v_fma_f64 v[117:118], v[71:72], s[14:15], v[101:102]
	v_fma_f64 v[101:102], v[71:72], s[14:15], -v[101:102]
	v_add_f64 v[77:78], v[91:92], v[77:78]
	v_add_f64 v[83:84], v[93:94], v[83:84]
	v_fma_f64 v[119:120], v[71:72], s[6:7], v[85:86]
	v_add_f64 v[65:66], v[65:66], v[111:112]
	v_fma_f64 v[85:86], v[71:72], s[6:7], -v[85:86]
	v_fma_f64 v[131:132], v[71:72], s[4:5], v[103:104]
	v_add_f64 v[69:70], v[121:122], v[69:70]
	v_fma_f64 v[103:104], v[71:72], s[4:5], -v[103:104]
	v_fma_f64 v[133:134], v[71:72], s[16:17], v[63:64]
	v_fma_f64 v[63:64], v[71:72], s[16:17], -v[63:64]
	v_add_f64 v[87:88], v[95:96], v[87:88]
	v_add_f64 v[67:68], v[67:68], v[89:90]
	;; [unrolled: 1-line block ×8, first 2 shown]
	v_mul_f64 v[71:72], v[54:55], s[20:21]
	v_mul_f64 v[111:112], v[54:55], s[24:25]
	;; [unrolled: 1-line block ×4, first 2 shown]
	v_fma_f64 v[95:96], v[73:74], s[6:7], v[79:80]
	v_fma_f64 v[79:80], v[73:74], s[6:7], -v[79:80]
	v_fma_f64 v[97:98], v[73:74], s[4:5], v[105:106]
	v_fma_f64 v[105:106], v[73:74], s[4:5], -v[105:106]
	;; [unrolled: 2-line block ×5, first 2 shown]
	v_add_f64 v[73:74], v[99:100], v[77:78]
	v_add_f64 v[77:78], v[101:102], v[83:84]
	;; [unrolled: 1-line block ×11, first 2 shown]
	v_fma_f64 v[87:88], v[75:76], s[16:17], v[71:72]
	v_fma_f64 v[71:72], v[75:76], s[16:17], -v[71:72]
	v_fma_f64 v[89:90], v[75:76], s[6:7], v[81:82]
	v_fma_f64 v[81:82], v[75:76], s[6:7], -v[81:82]
	;; [unrolled: 2-line block ×5, first 2 shown]
	v_add_f64 v[73:74], v[79:80], v[73:74]
	v_add_f64 v[75:76], v[105:106], v[77:78]
	;; [unrolled: 1-line block ×22, first 2 shown]
	v_mul_u32_u24_e32 v63, 0xb0, v62
	v_or_b32_e32 v63, v63, v61
	v_lshl_add_u32 v63, v63, 3, 0
	v_add_f64 v[16:17], v[16:17], v[38:39]
	ds_write2_b64 v63, v[71:72], v[67:68] offset0:64 offset1:80
	ds_write2_b64 v63, v[65:66], v[69:70] offset0:96 offset1:112
	;; [unrolled: 1-line block ×4, first 2 shown]
	ds_write2_b64 v63, v[16:17], v[52:53] offset1:16
	ds_write_b64 v63, v[4:5] offset:1280
.LBB0_19:
	s_or_b32 exec_lo, exec_lo, s1
	v_add_nc_u32_e32 v63, v59, v3
	v_add_nc_u32_e32 v59, v60, v2
	;; [unrolled: 1-line block ×3, first 2 shown]
	s_waitcnt lgkmcnt(0)
	s_barrier
	buffer_gl0_inv
	ds_read_b64 v[52:53], v63
	ds_read_b64 v[54:55], v58 offset:7040
	ds_read_b64 v[16:17], v58
	ds_read_b64 v[18:19], v59
	ds_read2_b64 v[2:5], v2 offset0:16 offset1:192
	s_waitcnt lgkmcnt(0)
	s_barrier
	buffer_gl0_inv
	s_and_saveexec_b32 s28, s0
	s_cbranch_execz .LBB0_21
; %bb.20:
	v_add_f64 v[64:65], v[0:1], v[36:37]
	v_add_f64 v[30:31], v[30:31], -v[38:39]
	s_mov_b32 s18, 0xf8bb580b
	s_mov_b32 s20, 0x43842ef
	;; [unrolled: 1-line block ×10, first 2 shown]
	v_add_f64 v[36:37], v[36:37], v[6:7]
	v_add_f64 v[28:29], v[50:51], -v[28:29]
	v_add_f64 v[20:21], v[34:35], -v[20:21]
	v_add_f64 v[26:27], v[46:47], -v[26:27]
	v_add_f64 v[46:47], v[32:33], v[12:13]
	s_mov_b32 s0, 0x8764f0ba
	s_mov_b32 s4, 0xd9c712b6
	;; [unrolled: 1-line block ×5, first 2 shown]
	v_add_f64 v[38:39], v[64:65], v[48:49]
	v_mul_f64 v[34:35], v[30:31], s[18:19]
	v_mul_f64 v[50:51], v[30:31], s[10:11]
	;; [unrolled: 1-line block ×5, first 2 shown]
	s_mov_b32 s7, 0xbfc2375f
	s_mov_b32 s14, 0x7f775887
	s_mov_b32 s16, 0x9bcd5057
	s_mov_b32 s27, 0x3fd207e7
	s_mov_b32 s31, 0x3fefac9e
	s_mov_b32 s35, 0x3fe14ced
	s_mov_b32 s26, s24
	s_mov_b32 s30, s20
	s_mov_b32 s34, s18
	s_mov_b32 s15, 0xbfe4f49e
	s_mov_b32 s17, 0xbfeeb42a
	v_add_f64 v[48:49], v[48:49], v[8:9]
	v_mul_f64 v[68:69], v[28:29], s[10:11]
	v_mul_f64 v[70:71], v[28:29], s[22:23]
	;; [unrolled: 1-line block ×4, first 2 shown]
	v_add_f64 v[38:39], v[38:39], v[44:45]
	v_mul_f64 v[28:29], v[28:29], s[34:35]
	v_fma_f64 v[98:99], v[36:37], s[0:1], v[34:35]
	v_fma_f64 v[100:101], v[36:37], s[4:5], v[50:51]
	v_fma_f64 v[50:51], v[36:37], s[4:5], -v[50:51]
	v_fma_f64 v[102:103], v[36:37], s[6:7], v[64:65]
	v_fma_f64 v[104:105], v[36:37], s[14:15], v[66:67]
	;; [unrolled: 1-line block ×3, first 2 shown]
	v_fma_f64 v[66:67], v[36:37], s[14:15], -v[66:67]
	v_fma_f64 v[30:31], v[36:37], s[16:17], -v[30:31]
	;; [unrolled: 1-line block ×3, first 2 shown]
	v_add_f64 v[22:23], v[42:43], -v[22:23]
	v_add_f64 v[42:43], v[24:25], v[14:15]
	s_mov_b32 s11, 0x3fed1bb4
	v_add_f64 v[44:45], v[44:45], v[10:11]
	v_mul_f64 v[76:77], v[26:27], s[20:21]
	v_mul_f64 v[78:79], v[26:27], s[18:19]
	;; [unrolled: 1-line block ×5, first 2 shown]
	v_fma_f64 v[108:109], v[48:49], s[16:17], v[72:73]
	v_fma_f64 v[72:73], v[48:49], s[16:17], -v[72:73]
	v_add_f64 v[32:33], v[38:39], v[32:33]
	v_mul_f64 v[38:39], v[26:27], s[26:27]
	v_mul_f64 v[26:27], v[26:27], s[10:11]
	v_fma_f64 v[110:111], v[48:49], s[6:7], v[74:75]
	v_fma_f64 v[74:75], v[48:49], s[6:7], -v[74:75]
	v_fma_f64 v[112:113], v[48:49], s[0:1], v[28:29]
	v_fma_f64 v[28:29], v[48:49], s[0:1], -v[28:29]
	v_add_f64 v[50:51], v[0:1], v[50:51]
	v_add_f64 v[66:67], v[0:1], v[66:67]
	;; [unrolled: 1-line block ×4, first 2 shown]
	v_mul_f64 v[82:83], v[22:23], s[22:23]
	v_mul_f64 v[84:85], v[22:23], s[30:31]
	v_mul_f64 v[86:87], v[22:23], s[18:19]
	v_mul_f64 v[88:89], v[22:23], s[24:25]
	v_mul_f64 v[22:23], v[22:23], s[10:11]
	v_mul_f64 v[94:95], v[20:21], s[22:23]
	v_fma_f64 v[114:115], v[44:45], s[14:15], v[80:81]
	v_fma_f64 v[80:81], v[44:45], s[14:15], -v[80:81]
	v_mul_f64 v[96:97], v[20:21], s[20:21]
	v_add_f64 v[24:25], v[32:33], v[24:25]
	v_fma_f64 v[32:33], v[36:37], s[0:1], -v[34:35]
	v_fma_f64 v[34:35], v[48:49], s[4:5], v[68:69]
	v_fma_f64 v[36:37], v[48:49], s[4:5], -v[68:69]
	v_fma_f64 v[68:69], v[48:49], s[14:15], v[70:71]
	v_fma_f64 v[70:71], v[48:49], s[14:15], -v[70:71]
	v_add_f64 v[48:49], v[0:1], v[98:99]
	v_add_f64 v[98:99], v[0:1], v[100:101]
	;; [unrolled: 1-line block ×5, first 2 shown]
	v_fma_f64 v[106:107], v[44:45], s[0:1], v[78:79]
	v_fma_f64 v[78:79], v[44:45], s[0:1], -v[78:79]
	v_fma_f64 v[116:117], v[44:45], s[4:5], v[26:27]
	v_fma_f64 v[26:27], v[44:45], s[4:5], -v[26:27]
	v_add_f64 v[66:67], v[74:75], v[66:67]
	v_add_f64 v[28:29], v[28:29], v[30:31]
	;; [unrolled: 1-line block ×3, first 2 shown]
	v_fma_f64 v[64:65], v[46:47], s[6:7], v[84:85]
	v_fma_f64 v[72:73], v[46:47], s[6:7], -v[84:85]
	v_fma_f64 v[74:75], v[46:47], s[0:1], v[86:87]
	v_fma_f64 v[84:85], v[46:47], s[16:17], v[88:89]
	v_add_f64 v[14:15], v[24:25], v[14:15]
	v_add_f64 v[0:1], v[0:1], v[32:33]
	v_fma_f64 v[24:25], v[44:45], s[6:7], v[76:77]
	v_fma_f64 v[32:33], v[44:45], s[6:7], -v[76:77]
	v_fma_f64 v[76:77], v[44:45], s[16:17], v[38:39]
	v_fma_f64 v[38:39], v[44:45], s[16:17], -v[38:39]
	v_add_f64 v[34:35], v[34:35], v[48:49]
	v_add_f64 v[44:45], v[68:69], v[98:99]
	;; [unrolled: 1-line block ×8, first 2 shown]
	v_fma_f64 v[30:31], v[42:43], s[16:17], -v[90:91]
	v_add_f64 v[12:13], v[14:15], v[12:13]
	v_add_f64 v[0:1], v[36:37], v[0:1]
	v_mul_f64 v[14:15], v[20:21], s[10:11]
	v_fma_f64 v[20:21], v[46:47], s[14:15], v[82:83]
	v_fma_f64 v[36:37], v[46:47], s[14:15], -v[82:83]
	v_fma_f64 v[82:83], v[46:47], s[0:1], -v[86:87]
	v_add_f64 v[24:25], v[24:25], v[34:35]
	v_add_f64 v[34:35], v[76:77], v[44:45]
	;; [unrolled: 1-line block ×4, first 2 shown]
	v_fma_f64 v[86:87], v[46:47], s[16:17], -v[88:89]
	v_fma_f64 v[88:89], v[46:47], s[4:5], v[22:23]
	v_fma_f64 v[22:23], v[46:47], s[4:5], -v[22:23]
	v_add_f64 v[46:47], v[106:107], v[68:69]
	v_add_f64 v[50:51], v[114:115], v[70:71]
	;; [unrolled: 1-line block ×3, first 2 shown]
	v_fma_f64 v[68:69], v[42:43], s[14:15], v[94:95]
	v_fma_f64 v[66:67], v[42:43], s[0:1], -v[92:93]
	v_fma_f64 v[70:71], v[42:43], s[14:15], -v[94:95]
	v_fma_f64 v[76:77], v[42:43], s[6:7], v[96:97]
	v_fma_f64 v[78:79], v[42:43], s[6:7], -v[96:97]
	v_add_f64 v[10:11], v[12:13], v[10:11]
	v_add_f64 v[0:1], v[32:33], v[0:1]
	v_fma_f64 v[12:13], v[42:43], s[16:17], v[90:91]
	v_fma_f64 v[32:33], v[42:43], s[0:1], v[92:93]
	;; [unrolled: 1-line block ×3, first 2 shown]
	v_fma_f64 v[14:15], v[42:43], s[4:5], -v[14:15]
	v_add_f64 v[20:21], v[20:21], v[24:25]
	v_add_f64 v[24:25], v[64:65], v[34:35]
	;; [unrolled: 1-line block ×22, first 2 shown]
	v_mul_u32_u24_e32 v8, 0xb0, v62
	v_or_b32_e32 v8, v8, v61
	v_lshl_add_u32 v8, v8, 3, 0
	ds_write2_b64 v8, v[12:13], v[24:25] offset0:32 offset1:48
	ds_write2_b64 v8, v[28:29], v[32:33] offset0:64 offset1:80
	ds_write2_b64 v8, v[22:23], v[14:15] offset0:96 offset1:112
	ds_write2_b64 v8, v[26:27], v[20:21] offset0:128 offset1:144
	ds_write2_b64 v8, v[6:7], v[10:11] offset1:16
	ds_write_b64 v8, v[0:1] offset:1280
.LBB0_21:
	s_or_b32 exec_lo, exec_lo, s28
	s_waitcnt lgkmcnt(0)
	s_barrier
	buffer_gl0_inv
	s_and_saveexec_b32 s0, vcc_lo
	s_cbranch_execz .LBB0_23
; %bb.22:
	v_mul_u32_u24_e32 v0, 5, v57
	s_mov_b32 s5, 0xbfebb67a
	v_add_nc_u32_e32 v60, 0x370, v56
	v_add_nc_u32_e32 v57, 0x160, v56
	v_lshlrev_b32_e32 v0, 4, v0
	v_add_co_u32 v6, s0, s8, v0
	v_add_co_ci_u32_e64 v7, null, s9, 0, s0
	s_mov_b32 s0, 0xe8584caa
	v_add_co_u32 v0, vcc_lo, 0xae0, v6
	v_add_co_ci_u32_e32 v1, vcc_lo, 0, v7, vcc_lo
	v_add_co_u32 v14, vcc_lo, 0x800, v6
	v_add_co_ci_u32_e32 v15, vcc_lo, 0, v7, vcc_lo
	s_mov_b32 s1, 0x3febb67a
	s_clause 0x4
	global_load_dwordx4 v[6:9], v[0:1], off offset:32
	global_load_dwordx4 v[10:13], v[14:15], off offset:800
	;; [unrolled: 1-line block ×5, first 2 shown]
	v_add_nc_u32_e32 v0, 0x1000, v58
	s_mov_b32 s4, s0
	ds_read2_b64 v[32:35], v0 offset0:16 offset1:192
	ds_read_b64 v[0:1], v58 offset:7040
	ds_read_b64 v[14:15], v63
	ds_read_b64 v[42:43], v59
	s_waitcnt vmcnt(4) lgkmcnt(3)
	v_mul_f64 v[36:37], v[32:33], v[8:9]
	v_mul_f64 v[8:9], v[2:3], v[8:9]
	s_waitcnt vmcnt(3)
	v_mul_f64 v[38:39], v[54:55], v[12:13]
	s_waitcnt lgkmcnt(2)
	v_mul_f64 v[12:13], v[0:1], v[12:13]
	s_waitcnt vmcnt(2) lgkmcnt(1)
	v_mul_f64 v[44:45], v[14:15], v[22:23]
	v_mul_f64 v[22:23], v[52:53], v[22:23]
	v_fma_f64 v[2:3], v[2:3], v[6:7], -v[36:37]
	ds_read_b64 v[36:37], v58
	v_fma_f64 v[6:7], v[6:7], v[32:33], v[8:9]
	v_fma_f64 v[0:1], v[10:11], v[0:1], v[38:39]
	v_fma_f64 v[8:9], v[54:55], v[10:11], -v[12:13]
	s_waitcnt vmcnt(1) lgkmcnt(1)
	v_mul_f64 v[10:11], v[42:43], v[26:27]
	s_waitcnt vmcnt(0)
	v_mul_f64 v[12:13], v[34:35], v[30:31]
	v_mul_f64 v[26:27], v[18:19], v[26:27]
	;; [unrolled: 1-line block ×3, first 2 shown]
	v_fma_f64 v[32:33], v[52:53], v[20:21], -v[44:45]
	v_fma_f64 v[14:15], v[20:21], v[14:15], v[22:23]
	v_mad_u64_u32 v[38:39], null, s12, v56, 0
	v_add_nc_u32_e32 v59, 0x2c0, v56
	v_add_nc_u32_e32 v55, 0xb0, v56
	v_mad_u64_u32 v[44:45], null, s12, v60, 0
	v_add_nc_u32_e32 v58, 0x210, v56
	v_mad_u64_u32 v[46:47], null, s13, v56, v[39:40]
	v_add_f64 v[20:21], v[6:7], v[0:1]
	v_add_f64 v[22:23], v[2:3], v[8:9]
	v_fma_f64 v[10:11], v[18:19], v[24:25], -v[10:11]
	v_fma_f64 v[4:5], v[4:5], v[28:29], -v[12:13]
	v_fma_f64 v[12:13], v[24:25], v[42:43], v[26:27]
	v_fma_f64 v[18:19], v[28:29], v[34:35], v[30:31]
	v_add_f64 v[24:25], v[6:7], -v[0:1]
	v_add_f64 v[26:27], v[2:3], -v[8:9]
	v_mad_u64_u32 v[42:43], null, s12, v59, 0
	v_mad_u64_u32 v[28:29], null, s12, v55, 0
	;; [unrolled: 1-line block ×4, first 2 shown]
	v_mov_b32_e32 v39, v43
	v_mov_b32_e32 v43, v45
	v_add_f64 v[6:7], v[14:15], v[6:7]
	v_add_f64 v[2:3], v[32:33], v[2:3]
	v_fma_f64 v[20:21], v[20:21], -0.5, v[14:15]
	v_fma_f64 v[22:23], v[22:23], -0.5, v[32:33]
	v_add_f64 v[49:50], v[10:11], v[4:5]
	v_add_f64 v[47:48], v[12:13], v[18:19]
	;; [unrolled: 1-line block ×4, first 2 shown]
	v_fma_f64 v[51:52], v[26:27], s[0:1], v[20:21]
	v_fma_f64 v[53:54], v[24:25], s[4:5], v[22:23]
	;; [unrolled: 1-line block ×4, first 2 shown]
	v_mad_u64_u32 v[24:25], null, s13, v55, v[29:30]
	v_mad_u64_u32 v[55:56], null, s13, v59, v[39:40]
	;; [unrolled: 1-line block ×4, first 2 shown]
	s_waitcnt lgkmcnt(0)
	v_mad_u64_u32 v[26:27], null, s13, v58, v[35:36]
	v_add_f64 v[57:58], v[10:11], -v[4:5]
	v_add_f64 v[59:60], v[12:13], v[36:37]
	v_add_f64 v[10:11], v[16:17], v[10:11]
	v_fma_f64 v[14:15], v[47:48], -0.5, v[36:37]
	v_add_f64 v[12:13], v[12:13], -v[18:19]
	v_fma_f64 v[16:17], v[49:50], -0.5, v[16:17]
	v_mov_b32_e32 v39, v46
	v_add_co_u32 v50, vcc_lo, s2, v40
	v_mul_f64 v[32:33], v[51:52], -0.5
	v_mul_f64 v[36:37], v[22:23], s[4:5]
	v_mul_f64 v[46:47], v[20:21], s[0:1]
	v_mul_f64 v[48:49], v[53:54], -0.5
	v_mov_b32_e32 v29, v24
	v_mov_b32_e32 v31, v25
	;; [unrolled: 1-line block ×3, first 2 shown]
	v_add_co_ci_u32_e32 v61, vcc_lo, s3, v41, vcc_lo
	v_lshlrev_b64 v[38:39], 4, v[38:39]
	v_lshlrev_b64 v[0:1], 4, v[28:29]
	v_mov_b32_e32 v43, v55
	v_mov_b32_e32 v45, v56
	v_lshlrev_b64 v[28:29], 4, v[30:31]
	v_add_f64 v[18:19], v[59:60], v[18:19]
	v_add_f64 v[4:5], v[10:11], v[4:5]
	v_fma_f64 v[24:25], v[57:58], s[0:1], v[14:15]
	v_fma_f64 v[26:27], v[57:58], s[4:5], v[14:15]
	;; [unrolled: 1-line block ×3, first 2 shown]
	v_add_co_u32 v38, vcc_lo, v50, v38
	v_add_co_ci_u32_e32 v39, vcc_lo, v61, v39, vcc_lo
	v_fma_f64 v[14:15], v[53:54], s[4:5], v[32:33]
	v_fma_f64 v[32:33], v[12:13], s[0:1], v[16:17]
	v_fma_f64 v[20:21], v[20:21], 0.5, v[36:37]
	v_fma_f64 v[36:37], v[22:23], 0.5, v[46:47]
	v_fma_f64 v[46:47], v[51:52], s[0:1], v[48:49]
	v_lshlrev_b64 v[30:31], 4, v[34:35]
	v_lshlrev_b64 v[34:35], 4, v[42:43]
	;; [unrolled: 1-line block ×3, first 2 shown]
	v_add_co_u32 v44, vcc_lo, v50, v0
	v_add_co_ci_u32_e32 v45, vcc_lo, v61, v1, vcc_lo
	v_add_f64 v[2:3], v[18:19], -v[6:7]
	v_add_f64 v[0:1], v[4:5], -v[8:9]
	v_add_f64 v[6:7], v[18:19], v[6:7]
	v_add_f64 v[4:5], v[4:5], v[8:9]
	v_add_f64 v[10:11], v[24:25], -v[14:15]
	v_add_f64 v[14:15], v[24:25], v[14:15]
	v_add_f64 v[18:19], v[26:27], v[20:21]
	;; [unrolled: 1-line block ×4, first 2 shown]
	v_add_f64 v[22:23], v[26:27], -v[20:21]
	v_add_f64 v[20:21], v[32:33], -v[36:37]
	v_add_f64 v[8:9], v[40:41], -v[46:47]
	v_add_co_u32 v24, vcc_lo, v50, v28
	v_add_co_ci_u32_e32 v25, vcc_lo, v61, v29, vcc_lo
	v_add_co_u32 v26, vcc_lo, v50, v30
	v_add_co_ci_u32_e32 v27, vcc_lo, v61, v31, vcc_lo
	;; [unrolled: 2-line block ×4, first 2 shown]
	global_store_dwordx4 v[38:39], v[4:7], off
	global_store_dwordx4 v[44:45], v[16:19], off
	;; [unrolled: 1-line block ×6, first 2 shown]
.LBB0_23:
	s_endpgm
	.section	.rodata,"a",@progbits
	.p2align	6, 0x0
	.amdhsa_kernel fft_rtc_fwd_len1056_factors_2_2_2_2_11_6_wgs_176_tpt_176_halfLds_dp_ip_CI_sbrr_dirReg
		.amdhsa_group_segment_fixed_size 0
		.amdhsa_private_segment_fixed_size 0
		.amdhsa_kernarg_size 88
		.amdhsa_user_sgpr_count 6
		.amdhsa_user_sgpr_private_segment_buffer 1
		.amdhsa_user_sgpr_dispatch_ptr 0
		.amdhsa_user_sgpr_queue_ptr 0
		.amdhsa_user_sgpr_kernarg_segment_ptr 1
		.amdhsa_user_sgpr_dispatch_id 0
		.amdhsa_user_sgpr_flat_scratch_init 0
		.amdhsa_user_sgpr_private_segment_size 0
		.amdhsa_wavefront_size32 1
		.amdhsa_uses_dynamic_stack 0
		.amdhsa_system_sgpr_private_segment_wavefront_offset 0
		.amdhsa_system_sgpr_workgroup_id_x 1
		.amdhsa_system_sgpr_workgroup_id_y 0
		.amdhsa_system_sgpr_workgroup_id_z 0
		.amdhsa_system_sgpr_workgroup_info 0
		.amdhsa_system_vgpr_workitem_id 0
		.amdhsa_next_free_vgpr 135
		.amdhsa_next_free_sgpr 36
		.amdhsa_reserve_vcc 1
		.amdhsa_reserve_flat_scratch 0
		.amdhsa_float_round_mode_32 0
		.amdhsa_float_round_mode_16_64 0
		.amdhsa_float_denorm_mode_32 3
		.amdhsa_float_denorm_mode_16_64 3
		.amdhsa_dx10_clamp 1
		.amdhsa_ieee_mode 1
		.amdhsa_fp16_overflow 0
		.amdhsa_workgroup_processor_mode 1
		.amdhsa_memory_ordered 1
		.amdhsa_forward_progress 0
		.amdhsa_shared_vgpr_count 0
		.amdhsa_exception_fp_ieee_invalid_op 0
		.amdhsa_exception_fp_denorm_src 0
		.amdhsa_exception_fp_ieee_div_zero 0
		.amdhsa_exception_fp_ieee_overflow 0
		.amdhsa_exception_fp_ieee_underflow 0
		.amdhsa_exception_fp_ieee_inexact 0
		.amdhsa_exception_int_div_zero 0
	.end_amdhsa_kernel
	.text
.Lfunc_end0:
	.size	fft_rtc_fwd_len1056_factors_2_2_2_2_11_6_wgs_176_tpt_176_halfLds_dp_ip_CI_sbrr_dirReg, .Lfunc_end0-fft_rtc_fwd_len1056_factors_2_2_2_2_11_6_wgs_176_tpt_176_halfLds_dp_ip_CI_sbrr_dirReg
                                        ; -- End function
	.section	.AMDGPU.csdata,"",@progbits
; Kernel info:
; codeLenInByte = 8000
; NumSgprs: 38
; NumVgprs: 135
; ScratchSize: 0
; MemoryBound: 1
; FloatMode: 240
; IeeeMode: 1
; LDSByteSize: 0 bytes/workgroup (compile time only)
; SGPRBlocks: 4
; VGPRBlocks: 16
; NumSGPRsForWavesPerEU: 38
; NumVGPRsForWavesPerEU: 135
; Occupancy: 7
; WaveLimiterHint : 1
; COMPUTE_PGM_RSRC2:SCRATCH_EN: 0
; COMPUTE_PGM_RSRC2:USER_SGPR: 6
; COMPUTE_PGM_RSRC2:TRAP_HANDLER: 0
; COMPUTE_PGM_RSRC2:TGID_X_EN: 1
; COMPUTE_PGM_RSRC2:TGID_Y_EN: 0
; COMPUTE_PGM_RSRC2:TGID_Z_EN: 0
; COMPUTE_PGM_RSRC2:TIDIG_COMP_CNT: 0
	.text
	.p2alignl 6, 3214868480
	.fill 48, 4, 3214868480
	.type	__hip_cuid_ec9f3358c5773acf,@object ; @__hip_cuid_ec9f3358c5773acf
	.section	.bss,"aw",@nobits
	.globl	__hip_cuid_ec9f3358c5773acf
__hip_cuid_ec9f3358c5773acf:
	.byte	0                               ; 0x0
	.size	__hip_cuid_ec9f3358c5773acf, 1

	.ident	"AMD clang version 19.0.0git (https://github.com/RadeonOpenCompute/llvm-project roc-6.4.0 25133 c7fe45cf4b819c5991fe208aaa96edf142730f1d)"
	.section	".note.GNU-stack","",@progbits
	.addrsig
	.addrsig_sym __hip_cuid_ec9f3358c5773acf
	.amdgpu_metadata
---
amdhsa.kernels:
  - .args:
      - .actual_access:  read_only
        .address_space:  global
        .offset:         0
        .size:           8
        .value_kind:     global_buffer
      - .offset:         8
        .size:           8
        .value_kind:     by_value
      - .actual_access:  read_only
        .address_space:  global
        .offset:         16
        .size:           8
        .value_kind:     global_buffer
      - .actual_access:  read_only
        .address_space:  global
        .offset:         24
        .size:           8
        .value_kind:     global_buffer
      - .offset:         32
        .size:           8
        .value_kind:     by_value
      - .actual_access:  read_only
        .address_space:  global
        .offset:         40
        .size:           8
        .value_kind:     global_buffer
      - .actual_access:  read_only
        .address_space:  global
        .offset:         48
        .size:           8
        .value_kind:     global_buffer
      - .offset:         56
        .size:           4
        .value_kind:     by_value
      - .actual_access:  read_only
        .address_space:  global
        .offset:         64
        .size:           8
        .value_kind:     global_buffer
      - .actual_access:  read_only
        .address_space:  global
        .offset:         72
        .size:           8
        .value_kind:     global_buffer
      - .address_space:  global
        .offset:         80
        .size:           8
        .value_kind:     global_buffer
    .group_segment_fixed_size: 0
    .kernarg_segment_align: 8
    .kernarg_segment_size: 88
    .language:       OpenCL C
    .language_version:
      - 2
      - 0
    .max_flat_workgroup_size: 176
    .name:           fft_rtc_fwd_len1056_factors_2_2_2_2_11_6_wgs_176_tpt_176_halfLds_dp_ip_CI_sbrr_dirReg
    .private_segment_fixed_size: 0
    .sgpr_count:     38
    .sgpr_spill_count: 0
    .symbol:         fft_rtc_fwd_len1056_factors_2_2_2_2_11_6_wgs_176_tpt_176_halfLds_dp_ip_CI_sbrr_dirReg.kd
    .uniform_work_group_size: 1
    .uses_dynamic_stack: false
    .vgpr_count:     135
    .vgpr_spill_count: 0
    .wavefront_size: 32
    .workgroup_processor_mode: 1
amdhsa.target:   amdgcn-amd-amdhsa--gfx1030
amdhsa.version:
  - 1
  - 2
...

	.end_amdgpu_metadata
